;; amdgpu-corpus repo=ROCm/rocFFT kind=compiled arch=gfx1030 opt=O3
	.text
	.amdgcn_target "amdgcn-amd-amdhsa--gfx1030"
	.amdhsa_code_object_version 6
	.protected	fft_rtc_back_len1750_factors_2_5_5_7_5_wgs_175_tpt_175_halfLds_dp_op_CI_CI_unitstride_sbrr_C2R_dirReg ; -- Begin function fft_rtc_back_len1750_factors_2_5_5_7_5_wgs_175_tpt_175_halfLds_dp_op_CI_CI_unitstride_sbrr_C2R_dirReg
	.globl	fft_rtc_back_len1750_factors_2_5_5_7_5_wgs_175_tpt_175_halfLds_dp_op_CI_CI_unitstride_sbrr_C2R_dirReg
	.p2align	8
	.type	fft_rtc_back_len1750_factors_2_5_5_7_5_wgs_175_tpt_175_halfLds_dp_op_CI_CI_unitstride_sbrr_C2R_dirReg,@function
fft_rtc_back_len1750_factors_2_5_5_7_5_wgs_175_tpt_175_halfLds_dp_op_CI_CI_unitstride_sbrr_C2R_dirReg: ; @fft_rtc_back_len1750_factors_2_5_5_7_5_wgs_175_tpt_175_halfLds_dp_op_CI_CI_unitstride_sbrr_C2R_dirReg
; %bb.0:
	s_clause 0x2
	s_load_dwordx4 s[12:15], s[4:5], 0x0
	s_load_dwordx4 s[8:11], s[4:5], 0x58
	;; [unrolled: 1-line block ×3, first 2 shown]
	v_mul_u32_u24_e32 v1, 0x177, v0
	v_mov_b32_e32 v3, 0
	v_add_nc_u32_sdwa v5, s6, v1 dst_sel:DWORD dst_unused:UNUSED_PAD src0_sel:DWORD src1_sel:WORD_1
	v_mov_b32_e32 v1, 0
	v_mov_b32_e32 v6, v3
	v_mov_b32_e32 v2, 0
	s_waitcnt lgkmcnt(0)
	v_cmp_lt_u64_e64 s0, s[14:15], 2
	s_and_b32 vcc_lo, exec_lo, s0
	s_cbranch_vccnz .LBB0_8
; %bb.1:
	s_load_dwordx2 s[0:1], s[4:5], 0x10
	v_mov_b32_e32 v1, 0
	v_mov_b32_e32 v2, 0
	s_add_u32 s2, s18, 8
	s_addc_u32 s3, s19, 0
	s_add_u32 s6, s16, 8
	s_addc_u32 s7, s17, 0
	v_mov_b32_e32 v57, v2
	v_mov_b32_e32 v56, v1
	s_mov_b64 s[22:23], 1
	s_waitcnt lgkmcnt(0)
	s_add_u32 s20, s0, 8
	s_addc_u32 s21, s1, 0
.LBB0_2:                                ; =>This Inner Loop Header: Depth=1
	s_load_dwordx2 s[24:25], s[20:21], 0x0
                                        ; implicit-def: $vgpr58_vgpr59
	s_mov_b32 s0, exec_lo
	s_waitcnt lgkmcnt(0)
	v_or_b32_e32 v4, s25, v6
	v_cmpx_ne_u64_e32 0, v[3:4]
	s_xor_b32 s1, exec_lo, s0
	s_cbranch_execz .LBB0_4
; %bb.3:                                ;   in Loop: Header=BB0_2 Depth=1
	v_cvt_f32_u32_e32 v4, s24
	v_cvt_f32_u32_e32 v7, s25
	s_sub_u32 s0, 0, s24
	s_subb_u32 s26, 0, s25
	v_fmac_f32_e32 v4, 0x4f800000, v7
	v_rcp_f32_e32 v4, v4
	v_mul_f32_e32 v4, 0x5f7ffffc, v4
	v_mul_f32_e32 v7, 0x2f800000, v4
	v_trunc_f32_e32 v7, v7
	v_fmac_f32_e32 v4, 0xcf800000, v7
	v_cvt_u32_f32_e32 v7, v7
	v_cvt_u32_f32_e32 v4, v4
	v_mul_lo_u32 v8, s0, v7
	v_mul_hi_u32 v9, s0, v4
	v_mul_lo_u32 v10, s26, v4
	v_add_nc_u32_e32 v8, v9, v8
	v_mul_lo_u32 v9, s0, v4
	v_add_nc_u32_e32 v8, v8, v10
	v_mul_hi_u32 v10, v4, v9
	v_mul_lo_u32 v11, v4, v8
	v_mul_hi_u32 v12, v4, v8
	v_mul_hi_u32 v13, v7, v9
	v_mul_lo_u32 v9, v7, v9
	v_mul_hi_u32 v14, v7, v8
	v_mul_lo_u32 v8, v7, v8
	v_add_co_u32 v10, vcc_lo, v10, v11
	v_add_co_ci_u32_e32 v11, vcc_lo, 0, v12, vcc_lo
	v_add_co_u32 v9, vcc_lo, v10, v9
	v_add_co_ci_u32_e32 v9, vcc_lo, v11, v13, vcc_lo
	v_add_co_ci_u32_e32 v10, vcc_lo, 0, v14, vcc_lo
	v_add_co_u32 v8, vcc_lo, v9, v8
	v_add_co_ci_u32_e32 v9, vcc_lo, 0, v10, vcc_lo
	v_add_co_u32 v4, vcc_lo, v4, v8
	v_add_co_ci_u32_e32 v7, vcc_lo, v7, v9, vcc_lo
	v_mul_hi_u32 v8, s0, v4
	v_mul_lo_u32 v10, s26, v4
	v_mul_lo_u32 v9, s0, v7
	v_add_nc_u32_e32 v8, v8, v9
	v_mul_lo_u32 v9, s0, v4
	v_add_nc_u32_e32 v8, v8, v10
	v_mul_hi_u32 v10, v4, v9
	v_mul_lo_u32 v11, v4, v8
	v_mul_hi_u32 v12, v4, v8
	v_mul_hi_u32 v13, v7, v9
	v_mul_lo_u32 v9, v7, v9
	v_mul_hi_u32 v14, v7, v8
	v_mul_lo_u32 v8, v7, v8
	v_add_co_u32 v10, vcc_lo, v10, v11
	v_add_co_ci_u32_e32 v11, vcc_lo, 0, v12, vcc_lo
	v_add_co_u32 v9, vcc_lo, v10, v9
	v_add_co_ci_u32_e32 v9, vcc_lo, v11, v13, vcc_lo
	v_add_co_ci_u32_e32 v10, vcc_lo, 0, v14, vcc_lo
	v_add_co_u32 v8, vcc_lo, v9, v8
	v_add_co_ci_u32_e32 v9, vcc_lo, 0, v10, vcc_lo
	v_add_co_u32 v4, vcc_lo, v4, v8
	v_add_co_ci_u32_e32 v11, vcc_lo, v7, v9, vcc_lo
	v_mul_hi_u32 v13, v5, v4
	v_mad_u64_u32 v[9:10], null, v6, v4, 0
	v_mad_u64_u32 v[7:8], null, v5, v11, 0
	;; [unrolled: 1-line block ×3, first 2 shown]
	v_add_co_u32 v4, vcc_lo, v13, v7
	v_add_co_ci_u32_e32 v7, vcc_lo, 0, v8, vcc_lo
	v_add_co_u32 v4, vcc_lo, v4, v9
	v_add_co_ci_u32_e32 v4, vcc_lo, v7, v10, vcc_lo
	v_add_co_ci_u32_e32 v7, vcc_lo, 0, v12, vcc_lo
	v_add_co_u32 v4, vcc_lo, v4, v11
	v_add_co_ci_u32_e32 v9, vcc_lo, 0, v7, vcc_lo
	v_mul_lo_u32 v10, s25, v4
	v_mad_u64_u32 v[7:8], null, s24, v4, 0
	v_mul_lo_u32 v11, s24, v9
	v_sub_co_u32 v7, vcc_lo, v5, v7
	v_add3_u32 v8, v8, v11, v10
	v_sub_nc_u32_e32 v10, v6, v8
	v_subrev_co_ci_u32_e64 v10, s0, s25, v10, vcc_lo
	v_add_co_u32 v11, s0, v4, 2
	v_add_co_ci_u32_e64 v12, s0, 0, v9, s0
	v_sub_co_u32 v13, s0, v7, s24
	v_sub_co_ci_u32_e32 v8, vcc_lo, v6, v8, vcc_lo
	v_subrev_co_ci_u32_e64 v10, s0, 0, v10, s0
	v_cmp_le_u32_e32 vcc_lo, s24, v13
	v_cmp_eq_u32_e64 s0, s25, v8
	v_cndmask_b32_e64 v13, 0, -1, vcc_lo
	v_cmp_le_u32_e32 vcc_lo, s25, v10
	v_cndmask_b32_e64 v14, 0, -1, vcc_lo
	v_cmp_le_u32_e32 vcc_lo, s24, v7
	;; [unrolled: 2-line block ×3, first 2 shown]
	v_cndmask_b32_e64 v15, 0, -1, vcc_lo
	v_cmp_eq_u32_e32 vcc_lo, s25, v10
	v_cndmask_b32_e64 v7, v15, v7, s0
	v_cndmask_b32_e32 v10, v14, v13, vcc_lo
	v_add_co_u32 v13, vcc_lo, v4, 1
	v_add_co_ci_u32_e32 v14, vcc_lo, 0, v9, vcc_lo
	v_cmp_ne_u32_e32 vcc_lo, 0, v10
	v_cndmask_b32_e32 v8, v14, v12, vcc_lo
	v_cndmask_b32_e32 v10, v13, v11, vcc_lo
	v_cmp_ne_u32_e32 vcc_lo, 0, v7
	v_cndmask_b32_e32 v59, v9, v8, vcc_lo
	v_cndmask_b32_e32 v58, v4, v10, vcc_lo
.LBB0_4:                                ;   in Loop: Header=BB0_2 Depth=1
	s_andn2_saveexec_b32 s0, s1
	s_cbranch_execz .LBB0_6
; %bb.5:                                ;   in Loop: Header=BB0_2 Depth=1
	v_cvt_f32_u32_e32 v4, s24
	s_sub_i32 s1, 0, s24
	v_mov_b32_e32 v59, v3
	v_rcp_iflag_f32_e32 v4, v4
	v_mul_f32_e32 v4, 0x4f7ffffe, v4
	v_cvt_u32_f32_e32 v4, v4
	v_mul_lo_u32 v7, s1, v4
	v_mul_hi_u32 v7, v4, v7
	v_add_nc_u32_e32 v4, v4, v7
	v_mul_hi_u32 v4, v5, v4
	v_mul_lo_u32 v7, v4, s24
	v_add_nc_u32_e32 v8, 1, v4
	v_sub_nc_u32_e32 v7, v5, v7
	v_subrev_nc_u32_e32 v9, s24, v7
	v_cmp_le_u32_e32 vcc_lo, s24, v7
	v_cndmask_b32_e32 v7, v7, v9, vcc_lo
	v_cndmask_b32_e32 v4, v4, v8, vcc_lo
	v_cmp_le_u32_e32 vcc_lo, s24, v7
	v_add_nc_u32_e32 v8, 1, v4
	v_cndmask_b32_e32 v58, v4, v8, vcc_lo
.LBB0_6:                                ;   in Loop: Header=BB0_2 Depth=1
	s_or_b32 exec_lo, exec_lo, s0
	v_mul_lo_u32 v4, v59, s24
	v_mul_lo_u32 v9, v58, s25
	s_load_dwordx2 s[0:1], s[6:7], 0x0
	v_mad_u64_u32 v[7:8], null, v58, s24, 0
	s_load_dwordx2 s[24:25], s[2:3], 0x0
	s_add_u32 s22, s22, 1
	s_addc_u32 s23, s23, 0
	s_add_u32 s2, s2, 8
	s_addc_u32 s3, s3, 0
	s_add_u32 s6, s6, 8
	v_add3_u32 v4, v8, v9, v4
	v_sub_co_u32 v5, vcc_lo, v5, v7
	s_addc_u32 s7, s7, 0
	s_add_u32 s20, s20, 8
	v_sub_co_ci_u32_e32 v4, vcc_lo, v6, v4, vcc_lo
	s_addc_u32 s21, s21, 0
	s_waitcnt lgkmcnt(0)
	v_mul_lo_u32 v6, s0, v4
	v_mul_lo_u32 v7, s1, v5
	v_mad_u64_u32 v[1:2], null, s0, v5, v[1:2]
	v_mul_lo_u32 v4, s24, v4
	v_mul_lo_u32 v8, s25, v5
	v_mad_u64_u32 v[56:57], null, s24, v5, v[56:57]
	v_cmp_ge_u64_e64 s0, s[22:23], s[14:15]
	v_add3_u32 v2, v7, v2, v6
	v_add3_u32 v57, v8, v57, v4
	s_and_b32 vcc_lo, exec_lo, s0
	s_cbranch_vccnz .LBB0_9
; %bb.7:                                ;   in Loop: Header=BB0_2 Depth=1
	v_mov_b32_e32 v5, v58
	v_mov_b32_e32 v6, v59
	s_branch .LBB0_2
.LBB0_8:
	v_mov_b32_e32 v57, v2
	v_mov_b32_e32 v59, v6
	;; [unrolled: 1-line block ×4, first 2 shown]
.LBB0_9:
	s_load_dwordx2 s[0:1], s[4:5], 0x28
	v_mul_hi_u32 v3, 0x1767dcf, v0
	s_lshl_b64 s[4:5], s[14:15], 3
                                        ; implicit-def: $vgpr60
	s_add_u32 s2, s18, s4
	s_addc_u32 s3, s19, s5
	s_waitcnt lgkmcnt(0)
	v_cmp_gt_u64_e32 vcc_lo, s[0:1], v[58:59]
	v_cmp_le_u64_e64 s0, s[0:1], v[58:59]
	s_and_saveexec_b32 s1, s0
	s_xor_b32 s0, exec_lo, s1
; %bb.10:
	v_mul_u32_u24_e32 v1, 0xaf, v3
                                        ; implicit-def: $vgpr3
	v_sub_nc_u32_e32 v60, v0, v1
                                        ; implicit-def: $vgpr0
                                        ; implicit-def: $vgpr1_vgpr2
; %bb.11:
	s_or_saveexec_b32 s1, s0
	s_load_dwordx2 s[2:3], s[2:3], 0x0
	s_xor_b32 exec_lo, exec_lo, s1
	s_cbranch_execz .LBB0_15
; %bb.12:
	s_add_u32 s4, s16, s4
	s_addc_u32 s5, s17, s5
	v_lshlrev_b64 v[1:2], 4, v[1:2]
	s_load_dwordx2 s[4:5], s[4:5], 0x0
	s_waitcnt lgkmcnt(0)
	v_mul_lo_u32 v6, s5, v58
	v_mul_lo_u32 v7, s4, v59
	v_mad_u64_u32 v[4:5], null, s4, v58, 0
	s_mov_b32 s4, exec_lo
	v_add3_u32 v5, v5, v7, v6
	v_mul_u32_u24_e32 v6, 0xaf, v3
	v_lshlrev_b64 v[3:4], 4, v[4:5]
	v_sub_nc_u32_e32 v60, v0, v6
	v_lshlrev_b32_e32 v42, 4, v60
	v_add_co_u32 v0, s0, s8, v3
	v_add_co_ci_u32_e64 v3, s0, s9, v4, s0
	v_add_co_u32 v0, s0, v0, v1
	v_add_co_ci_u32_e64 v1, s0, v3, v2, s0
	;; [unrolled: 2-line block ×3, first 2 shown]
	v_add_nc_u32_e32 v42, 0, v42
	v_add_co_u32 v6, s0, 0x800, v2
	v_add_co_ci_u32_e64 v7, s0, 0, v3, s0
	v_add_co_u32 v10, s0, 0x1000, v2
	v_add_co_ci_u32_e64 v11, s0, 0, v3, s0
	;; [unrolled: 2-line block ×9, first 2 shown]
	s_clause 0x9
	global_load_dwordx4 v[2:5], v[2:3], off
	global_load_dwordx4 v[6:9], v[6:7], off offset:752
	global_load_dwordx4 v[10:13], v[10:11], off offset:1504
	;; [unrolled: 1-line block ×9, first 2 shown]
	s_waitcnt vmcnt(9)
	ds_write_b128 v42, v[2:5]
	s_waitcnt vmcnt(8)
	ds_write_b128 v42, v[6:9] offset:2800
	s_waitcnt vmcnt(7)
	ds_write_b128 v42, v[10:13] offset:5600
	;; [unrolled: 2-line block ×9, first 2 shown]
	v_cmpx_eq_u32_e32 0xae, v60
	s_cbranch_execz .LBB0_14
; %bb.13:
	v_add_co_u32 v0, s0, 0x6800, v0
	v_add_co_ci_u32_e64 v1, s0, 0, v1, s0
	v_mov_b32_e32 v4, 0
	v_mov_b32_e32 v60, 0xae
	global_load_dwordx4 v[0:3], v[0:1], off offset:1376
	s_waitcnt vmcnt(0)
	ds_write_b128 v4, v[0:3] offset:28000
.LBB0_14:
	s_or_b32 exec_lo, exec_lo, s4
.LBB0_15:
	s_or_b32 exec_lo, exec_lo, s1
	v_lshlrev_b32_e32 v0, 4, v60
	s_waitcnt lgkmcnt(0)
	s_barrier
	buffer_gl0_inv
	s_add_u32 s1, s12, 0x6d40
	v_add_nc_u32_e32 v63, 0, v0
	v_sub_nc_u32_e32 v8, 0, v0
	s_addc_u32 s4, s13, 0
	s_mov_b32 s5, exec_lo
	ds_read_b64 v[4:5], v63
	ds_read_b64 v[6:7], v8 offset:28000
	s_waitcnt lgkmcnt(0)
	v_add_f64 v[0:1], v[4:5], v[6:7]
	v_add_f64 v[2:3], v[4:5], -v[6:7]
	v_cmpx_ne_u32_e32 0, v60
	s_xor_b32 s5, exec_lo, s5
	s_cbranch_execz .LBB0_17
; %bb.16:
	v_mov_b32_e32 v61, 0
	v_add_f64 v[13:14], v[4:5], v[6:7]
	v_add_f64 v[15:16], v[4:5], -v[6:7]
	v_lshlrev_b64 v[0:1], 4, v[60:61]
	v_add_co_u32 v0, s0, s1, v0
	v_add_co_ci_u32_e64 v1, s0, s4, v1, s0
	global_load_dwordx4 v[9:12], v[0:1], off
	ds_read_b64 v[0:1], v8 offset:28008
	ds_read_b64 v[2:3], v63 offset:8
	s_waitcnt lgkmcnt(0)
	v_add_f64 v[4:5], v[0:1], v[2:3]
	v_add_f64 v[0:1], v[2:3], -v[0:1]
	s_waitcnt vmcnt(0)
	v_fma_f64 v[2:3], v[15:16], v[11:12], v[13:14]
	v_fma_f64 v[6:7], -v[15:16], v[11:12], v[13:14]
	v_fma_f64 v[13:14], v[4:5], v[11:12], -v[0:1]
	v_fma_f64 v[11:12], v[4:5], v[11:12], v[0:1]
	v_fma_f64 v[0:1], -v[4:5], v[9:10], v[2:3]
	v_fma_f64 v[4:5], v[4:5], v[9:10], v[6:7]
	v_fma_f64 v[6:7], v[15:16], v[9:10], v[13:14]
	;; [unrolled: 1-line block ×3, first 2 shown]
	ds_write_b128 v8, v[4:7] offset:28000
.LBB0_17:
	s_andn2_saveexec_b32 s0, s5
	s_cbranch_execz .LBB0_19
; %bb.18:
	v_mov_b32_e32 v9, 0
	ds_read_b128 v[4:7], v9 offset:14000
	s_waitcnt lgkmcnt(0)
	v_add_f64 v[4:5], v[4:5], v[4:5]
	v_mul_f64 v[6:7], v[6:7], -2.0
	ds_write_b128 v9, v[4:7] offset:14000
.LBB0_19:
	s_or_b32 exec_lo, exec_lo, s0
	v_add_nc_u32_e32 v61, 0xaf, v60
	v_mov_b32_e32 v62, 0
	v_add_nc_u32_e32 v41, 0x2bc, v60
	ds_write_b128 v63, v[0:3]
	v_and_b32_e32 v48, 1, v60
	v_and_b32_e32 v49, 1, v61
	v_lshlrev_b64 v[4:5], 4, v[61:62]
	v_mov_b32_e32 v42, v62
	v_lshl_add_u32 v43, v61, 5, 0
	v_lshlrev_b32_e32 v44, 6, v48
	v_lshrrev_b32_e32 v91, 1, v60
	v_mov_b32_e32 v92, 0xcccd
	v_add_co_u32 v4, s0, s1, v4
	v_add_co_ci_u32_e64 v5, s0, s4, v5, s0
	v_mul_u32_u24_e32 v108, 10, v91
	v_mul_u32_u24_sdwa v109, v61, v92 dst_sel:DWORD dst_unused:UNUSED_PAD src0_sel:WORD_0 src1_sel:DWORD
	s_mov_b32 s8, 0x134454ff
	global_load_dwordx4 v[9:12], v[4:5], off
	v_add_nc_u32_e32 v4, 0x15e, v60
	v_mov_b32_e32 v5, v62
	s_mov_b32 s9, 0xbfee6f0e
	s_mov_b32 s15, 0x3fee6f0e
	;; [unrolled: 1-line block ×4, first 2 shown]
	v_lshlrev_b64 v[5:6], 4, v[4:5]
	v_lshl_add_u32 v4, v4, 5, 0
	v_lshrrev_b32_e32 v107, 1, v61
	v_mov_b32_e32 v64, 6
	v_add_co_u32 v5, s0, s1, v5
	v_add_co_ci_u32_e64 v6, s0, s4, v6, s0
	global_load_dwordx4 v[13:16], v[5:6], off
	v_add_nc_u32_e32 v5, 0x20d, v60
	v_mov_b32_e32 v6, v62
	v_and_b32_e32 v62, 0xff, v60
	v_lshlrev_b64 v[5:6], 4, v[5:6]
	v_add_co_u32 v5, s0, s1, v5
	v_add_co_ci_u32_e64 v6, s0, s4, v6, s0
	global_load_dwordx4 v[17:20], v[5:6], off
	v_lshlrev_b64 v[5:6], 4, v[41:42]
	ds_read_b128 v[0:3], v63 offset:2800
	ds_read_b128 v[21:24], v8 offset:25200
	v_lshl_add_u32 v42, v60, 4, v63
	v_lshl_add_u32 v41, v41, 5, 0
	v_add_co_u32 v5, s0, s1, v5
	v_add_co_ci_u32_e64 v6, s0, s4, v6, s0
	s_mov_b32 s4, 0x4755a5e
	s_mov_b32 s5, 0xbfe2cf23
	;; [unrolled: 1-line block ×3, first 2 shown]
	global_load_dwordx4 v[25:28], v[5:6], off
	s_mov_b32 s0, 0x372fe950
	s_mov_b32 s1, 0x3fd3c6ef
	s_waitcnt lgkmcnt(0)
	v_add_f64 v[5:6], v[0:1], v[21:22]
	v_add_f64 v[29:30], v[23:24], v[2:3]
	v_add_f64 v[31:32], v[0:1], -v[21:22]
	v_add_f64 v[0:1], v[2:3], -v[23:24]
	s_waitcnt vmcnt(3)
	v_fma_f64 v[2:3], v[31:32], v[11:12], v[5:6]
	v_fma_f64 v[21:22], v[29:30], v[11:12], v[0:1]
	v_fma_f64 v[5:6], -v[31:32], v[11:12], v[5:6]
	v_fma_f64 v[11:12], v[29:30], v[11:12], -v[0:1]
	v_fma_f64 v[0:1], -v[29:30], v[9:10], v[2:3]
	v_fma_f64 v[2:3], v[31:32], v[9:10], v[21:22]
	v_fma_f64 v[21:22], v[29:30], v[9:10], v[5:6]
	v_fma_f64 v[23:24], v[31:32], v[9:10], v[11:12]
	ds_write_b128 v63, v[0:3] offset:2800
	ds_write_b128 v8, v[21:24] offset:25200
	ds_read_b128 v[0:3], v63 offset:5600
	ds_read_b128 v[9:12], v8 offset:22400
	s_waitcnt lgkmcnt(0)
	v_add_f64 v[5:6], v[0:1], v[9:10]
	v_add_f64 v[21:22], v[11:12], v[2:3]
	v_add_f64 v[23:24], v[0:1], -v[9:10]
	v_add_f64 v[0:1], v[2:3], -v[11:12]
	s_waitcnt vmcnt(2)
	v_fma_f64 v[2:3], v[23:24], v[15:16], v[5:6]
	v_fma_f64 v[9:10], v[21:22], v[15:16], v[0:1]
	v_fma_f64 v[5:6], -v[23:24], v[15:16], v[5:6]
	v_fma_f64 v[11:12], v[21:22], v[15:16], -v[0:1]
	v_fma_f64 v[0:1], -v[21:22], v[13:14], v[2:3]
	v_fma_f64 v[2:3], v[23:24], v[13:14], v[9:10]
	v_fma_f64 v[9:10], v[21:22], v[13:14], v[5:6]
	v_fma_f64 v[11:12], v[23:24], v[13:14], v[11:12]
	ds_write_b128 v63, v[0:3] offset:5600
	ds_write_b128 v8, v[9:12] offset:22400
	ds_read_b128 v[0:3], v63 offset:8400
	ds_read_b128 v[9:12], v8 offset:19600
	;; [unrolled: 18-line block ×3, first 2 shown]
	s_waitcnt lgkmcnt(0)
	v_add_f64 v[5:6], v[0:1], v[9:10]
	v_add_f64 v[13:14], v[11:12], v[2:3]
	v_add_f64 v[15:16], v[0:1], -v[9:10]
	v_add_f64 v[0:1], v[2:3], -v[11:12]
	s_waitcnt vmcnt(0)
	v_fma_f64 v[2:3], v[15:16], v[27:28], v[5:6]
	v_fma_f64 v[9:10], v[13:14], v[27:28], v[0:1]
	v_fma_f64 v[5:6], -v[15:16], v[27:28], v[5:6]
	v_fma_f64 v[11:12], v[13:14], v[27:28], -v[0:1]
	v_fma_f64 v[0:1], -v[13:14], v[25:26], v[2:3]
	v_fma_f64 v[2:3], v[15:16], v[25:26], v[9:10]
	v_fma_f64 v[9:10], v[13:14], v[25:26], v[5:6]
	;; [unrolled: 1-line block ×3, first 2 shown]
	ds_write_b128 v63, v[0:3] offset:11200
	ds_write_b128 v8, v[9:12] offset:16800
	s_waitcnt lgkmcnt(0)
	s_barrier
	buffer_gl0_inv
	s_barrier
	buffer_gl0_inv
	ds_read_b128 v[0:3], v63 offset:14000
	ds_read_b128 v[5:8], v63
	ds_read_b128 v[9:12], v63 offset:2800
	ds_read_b128 v[13:16], v63 offset:16800
	;; [unrolled: 1-line block ×8, first 2 shown]
	s_waitcnt lgkmcnt(0)
	s_barrier
	buffer_gl0_inv
	v_add_f64 v[0:1], v[5:6], -v[0:1]
	v_add_f64 v[2:3], v[7:8], -v[2:3]
	;; [unrolled: 1-line block ×10, first 2 shown]
	v_fma_f64 v[5:6], v[5:6], 2.0, -v[0:1]
	v_fma_f64 v[7:8], v[7:8], 2.0, -v[2:3]
	v_fma_f64 v[9:10], v[9:10], 2.0, -v[13:14]
	v_fma_f64 v[11:12], v[11:12], 2.0, -v[15:16]
	v_fma_f64 v[21:22], v[21:22], 2.0, -v[17:18]
	v_fma_f64 v[23:24], v[23:24], 2.0, -v[19:20]
	v_fma_f64 v[25:26], v[25:26], 2.0, -v[29:30]
	v_fma_f64 v[27:28], v[27:28], 2.0, -v[31:32]
	v_fma_f64 v[33:34], v[33:34], 2.0, -v[37:38]
	v_fma_f64 v[35:36], v[35:36], 2.0, -v[39:40]
	ds_write_b128 v42, v[0:3] offset:16
	ds_write_b128 v43, v[13:16] offset:16
	;; [unrolled: 1-line block ×5, first 2 shown]
	ds_write_b128 v42, v[5:8]
	ds_write_b128 v43, v[9:12]
	;; [unrolled: 1-line block ×3, first 2 shown]
	ds_write_b128 v42, v[25:28] offset:16800
	ds_write_b128 v41, v[33:36]
	v_lshlrev_b32_e32 v28, 6, v49
	s_waitcnt lgkmcnt(0)
	s_barrier
	buffer_gl0_inv
	s_clause 0x7
	global_load_dwordx4 v[0:3], v44, s[12:13]
	global_load_dwordx4 v[8:11], v44, s[12:13] offset:16
	global_load_dwordx4 v[4:7], v44, s[12:13] offset:32
	;; [unrolled: 1-line block ×3, first 2 shown]
	global_load_dwordx4 v[16:19], v28, s[12:13]
	global_load_dwordx4 v[20:23], v28, s[12:13] offset:16
	global_load_dwordx4 v[24:27], v28, s[12:13] offset:32
	;; [unrolled: 1-line block ×3, first 2 shown]
	ds_read_b128 v[40:43], v63 offset:5600
	ds_read_b128 v[32:35], v63 offset:11200
	;; [unrolled: 1-line block ×8, first 2 shown]
	s_waitcnt vmcnt(6) lgkmcnt(6)
	v_mul_f64 v[77:78], v[34:35], v[10:11]
	s_waitcnt vmcnt(5) lgkmcnt(5)
	v_mul_f64 v[79:80], v[38:39], v[6:7]
	v_mul_f64 v[10:11], v[32:33], v[10:11]
	;; [unrolled: 1-line block ×5, first 2 shown]
	s_waitcnt vmcnt(4) lgkmcnt(4)
	v_mul_f64 v[81:82], v[46:47], v[14:15]
	v_mul_f64 v[14:15], v[44:45], v[14:15]
	s_waitcnt vmcnt(3) lgkmcnt(3)
	v_mul_f64 v[83:84], v[52:53], v[18:19]
	v_mul_f64 v[18:19], v[50:51], v[18:19]
	;; [unrolled: 3-line block ×3, first 2 shown]
	s_waitcnt vmcnt(1) lgkmcnt(1)
	v_mul_f64 v[87:88], v[71:72], v[26:27]
	s_waitcnt vmcnt(0) lgkmcnt(0)
	v_mul_f64 v[89:90], v[75:76], v[30:31]
	v_mul_f64 v[26:27], v[69:70], v[26:27]
	;; [unrolled: 1-line block ×3, first 2 shown]
	v_fma_f64 v[32:33], v[32:33], v[8:9], v[77:78]
	v_fma_f64 v[36:37], v[36:37], v[4:5], v[79:80]
	v_fma_f64 v[8:9], v[34:35], v[8:9], -v[10:11]
	v_fma_f64 v[10:11], v[38:39], v[4:5], -v[6:7]
	v_fma_f64 v[40:41], v[40:41], v[0:1], v[54:55]
	v_fma_f64 v[42:43], v[42:43], v[0:1], -v[2:3]
	v_fma_f64 v[44:45], v[44:45], v[12:13], v[81:82]
	;; [unrolled: 2-line block ×5, first 2 shown]
	v_fma_f64 v[38:39], v[73:74], v[28:29], v[89:90]
	v_fma_f64 v[23:24], v[71:72], v[24:25], -v[26:27]
	v_fma_f64 v[25:26], v[75:76], v[28:29], -v[30:31]
	v_mul_lo_u16 v4, 0xcd, v62
	ds_read_b128 v[0:3], v63
	v_lshrrev_b16 v12, 11, v4
	ds_read_b128 v[4:7], v63 offset:2800
	v_add_f64 v[46:47], v[32:33], v[36:37]
	v_add_f64 v[75:76], v[32:33], -v[36:37]
	v_add_f64 v[65:66], v[8:9], v[10:11]
	v_add_f64 v[27:28], v[40:41], -v[32:33]
	v_add_f64 v[67:68], v[8:9], -v[10:11]
	v_add_f64 v[71:72], v[40:41], v[44:45]
	v_add_f64 v[73:74], v[42:43], v[13:14]
	v_add_f64 v[29:30], v[44:45], -v[36:37]
	v_add_f64 v[50:51], v[42:43], -v[13:14]
	;; [unrolled: 1-line block ×4, first 2 shown]
	v_add_f64 v[81:82], v[17:18], v[21:22]
	v_add_f64 v[83:84], v[34:35], v[38:39]
	;; [unrolled: 1-line block ×4, first 2 shown]
	s_waitcnt lgkmcnt(1)
	v_add_f64 v[77:78], v[0:1], v[40:41]
	v_add_f64 v[79:80], v[2:3], v[42:43]
	v_add_f64 v[40:41], v[32:33], -v[40:41]
	v_add_f64 v[52:53], v[42:43], -v[8:9]
	s_waitcnt lgkmcnt(0)
	v_add_f64 v[89:90], v[4:5], v[34:35]
	v_add_f64 v[91:92], v[6:7], v[15:16]
	v_add_f64 v[54:55], v[13:14], -v[10:11]
	v_fma_f64 v[46:47], v[46:47], -0.5, v[0:1]
	v_add_f64 v[42:43], v[8:9], -v[42:43]
	v_fma_f64 v[65:66], v[65:66], -0.5, v[2:3]
	v_add_f64 v[95:96], v[10:11], -v[13:14]
	v_add_f64 v[97:98], v[15:16], -v[25:26]
	v_fma_f64 v[0:1], v[71:72], -0.5, v[0:1]
	v_fma_f64 v[2:3], v[73:74], -0.5, v[2:3]
	v_add_f64 v[99:100], v[34:35], -v[17:18]
	v_add_f64 v[101:102], v[17:18], -v[34:35]
	;; [unrolled: 1-line block ×4, first 2 shown]
	v_fma_f64 v[81:82], v[81:82], -0.5, v[4:5]
	v_fma_f64 v[4:5], v[83:84], -0.5, v[4:5]
	;; [unrolled: 1-line block ×3, first 2 shown]
	v_add_f64 v[105:106], v[21:22], -v[38:39]
	v_add_f64 v[73:74], v[19:20], -v[23:24]
	v_fma_f64 v[6:7], v[87:88], -0.5, v[6:7]
	v_add_f64 v[87:88], v[17:18], -v[21:22]
	v_add_f64 v[71:72], v[15:16], -v[19:20]
	;; [unrolled: 1-line block ×4, first 2 shown]
	v_add_f64 v[27:28], v[27:28], v[29:30]
	v_add_f64 v[29:30], v[23:24], -v[25:26]
	v_add_f64 v[31:32], v[77:78], v[32:33]
	v_add_f64 v[8:9], v[79:80], v[8:9]
	;; [unrolled: 1-line block ×4, first 2 shown]
	v_fma_f64 v[79:80], v[50:51], s[8:9], v[46:47]
	v_fma_f64 v[89:90], v[69:70], s[14:15], v[65:66]
	v_add_f64 v[40:41], v[40:41], v[93:94]
	v_fma_f64 v[91:92], v[67:68], s[14:15], v[0:1]
	v_fma_f64 v[93:94], v[75:76], s[8:9], v[2:3]
	v_fma_f64 v[46:47], v[50:51], s[14:15], v[46:47]
	v_fma_f64 v[0:1], v[67:68], s[8:9], v[0:1]
	v_fma_f64 v[2:3], v[75:76], s[14:15], v[2:3]
	v_fma_f64 v[65:66], v[69:70], s[8:9], v[65:66]
	v_add_f64 v[52:53], v[52:53], v[54:55]
	v_add_f64 v[42:43], v[42:43], v[95:96]
	;; [unrolled: 1-line block ×3, first 2 shown]
	v_fma_f64 v[95:96], v[97:98], s[8:9], v[81:82]
	v_fma_f64 v[99:100], v[34:35], s[14:15], v[83:84]
	v_add_f64 v[77:78], v[101:102], v[105:106]
	v_fma_f64 v[101:102], v[73:74], s[14:15], v[4:5]
	v_fma_f64 v[103:104], v[87:88], s[8:9], v[6:7]
	;; [unrolled: 1-line block ×6, first 2 shown]
	v_add_f64 v[71:72], v[71:72], v[85:86]
	v_add_f64 v[85:86], v[15:16], v[29:30]
	;; [unrolled: 1-line block ×6, first 2 shown]
	v_fma_f64 v[19:20], v[67:68], s[4:5], v[79:80]
	v_fma_f64 v[21:22], v[75:76], s[6:7], v[89:90]
	;; [unrolled: 1-line block ×16, first 2 shown]
	v_mul_lo_u16 v88, v12, 10
	v_mul_u32_u24_e32 v87, 10, v107
	v_add_f64 v[0:1], v[15:16], v[44:45]
	v_add_f64 v[2:3], v[8:9], v[13:14]
	v_add_f64 v[6:7], v[10:11], v[25:26]
	v_add_f64 v[4:5], v[17:18], v[38:39]
	v_fma_f64 v[8:9], v[27:28], s[0:1], v[19:20]
	v_fma_f64 v[10:11], v[52:53], s[0:1], v[21:22]
	;; [unrolled: 1-line block ×13, first 2 shown]
	v_lshrrev_b32_e32 v55, 19, v109
	v_fma_f64 v[37:38], v[77:78], s[0:1], v[79:80]
	v_fma_f64 v[39:40], v[85:86], s[0:1], v[81:82]
	;; [unrolled: 1-line block ×3, first 2 shown]
	v_or_b32_e32 v41, v108, v48
	v_sub_nc_u16 v107, v60, v88
	v_mul_lo_u16 v43, v55, 10
	v_or_b32_e32 v42, v87, v49
	v_lshl_add_u32 v41, v41, 4, 0
	v_lshlrev_b32_sdwa v44, v64, v107 dst_sel:DWORD dst_unused:UNUSED_PAD src0_sel:DWORD src1_sel:BYTE_0
	v_sub_nc_u16 v108, v61, v43
	v_lshl_add_u32 v42, v42, 4, 0
	s_barrier
	buffer_gl0_inv
	ds_write_b128 v41, v[0:3]
	ds_write_b128 v41, v[8:11] offset:32
	ds_write_b128 v41, v[17:20] offset:64
	;; [unrolled: 1-line block ×4, first 2 shown]
	ds_write_b128 v42, v[4:7]
	ds_write_b128 v42, v[25:28] offset:32
	ds_write_b128 v42, v[29:32] offset:64
	;; [unrolled: 1-line block ×4, first 2 shown]
	s_waitcnt lgkmcnt(0)
	s_barrier
	buffer_gl0_inv
	s_clause 0x3
	global_load_dwordx4 v[0:3], v44, s[12:13] offset:128
	global_load_dwordx4 v[4:7], v44, s[12:13] offset:144
	;; [unrolled: 1-line block ×4, first 2 shown]
	v_lshlrev_b32_sdwa v29, v64, v108 dst_sel:DWORD dst_unused:UNUSED_PAD src0_sel:DWORD src1_sel:WORD_0
	s_clause 0x3
	global_load_dwordx4 v[17:20], v29, s[12:13] offset:128
	global_load_dwordx4 v[21:24], v29, s[12:13] offset:144
	;; [unrolled: 1-line block ×4, first 2 shown]
	ds_read_b128 v[33:36], v63 offset:5600
	ds_read_b128 v[37:40], v63 offset:11200
	;; [unrolled: 1-line block ×8, first 2 shown]
	s_waitcnt vmcnt(7) lgkmcnt(7)
	v_mul_f64 v[53:54], v[35:36], v[2:3]
	s_waitcnt vmcnt(6) lgkmcnt(6)
	v_mul_f64 v[77:78], v[39:40], v[6:7]
	v_mul_f64 v[6:7], v[37:38], v[6:7]
	s_waitcnt vmcnt(5) lgkmcnt(5)
	v_mul_f64 v[79:80], v[43:44], v[10:11]
	s_waitcnt vmcnt(4) lgkmcnt(4)
	v_mul_f64 v[81:82], v[47:48], v[15:16]
	v_mul_f64 v[10:11], v[41:42], v[10:11]
	;; [unrolled: 1-line block ×4, first 2 shown]
	s_waitcnt vmcnt(3) lgkmcnt(3)
	v_mul_f64 v[83:84], v[51:52], v[19:20]
	v_mul_f64 v[19:20], v[49:50], v[19:20]
	s_waitcnt vmcnt(2) lgkmcnt(2)
	v_mul_f64 v[85:86], v[67:68], v[23:24]
	v_mul_f64 v[23:24], v[65:66], v[23:24]
	;; [unrolled: 3-line block ×4, first 2 shown]
	v_fma_f64 v[33:34], v[33:34], v[0:1], v[53:54]
	v_fma_f64 v[37:38], v[37:38], v[4:5], v[77:78]
	v_fma_f64 v[39:40], v[39:40], v[4:5], -v[6:7]
	v_fma_f64 v[41:42], v[41:42], v[8:9], v[79:80]
	v_fma_f64 v[45:46], v[45:46], v[13:14], v[81:82]
	v_fma_f64 v[8:9], v[43:44], v[8:9], -v[10:11]
	v_fma_f64 v[35:36], v[35:36], v[0:1], -v[2:3]
	;; [unrolled: 1-line block ×3, first 2 shown]
	v_fma_f64 v[13:14], v[49:50], v[17:18], v[83:84]
	v_fma_f64 v[15:16], v[51:52], v[17:18], -v[19:20]
	v_fma_f64 v[17:18], v[65:66], v[21:22], v[85:86]
	v_fma_f64 v[19:20], v[67:68], v[21:22], -v[23:24]
	;; [unrolled: 2-line block ×4, first 2 shown]
	ds_read_b128 v[0:3], v63
	ds_read_b128 v[4:7], v63 offset:2800
	s_waitcnt lgkmcnt(0)
	s_barrier
	buffer_gl0_inv
	v_add_f64 v[73:74], v[33:34], -v[37:38]
	v_add_f64 v[75:76], v[37:38], -v[33:34]
	v_add_f64 v[29:30], v[37:38], v[41:42]
	v_add_f64 v[31:32], v[33:34], v[45:46]
	;; [unrolled: 1-line block ×3, first 2 shown]
	v_add_f64 v[65:66], v[35:36], -v[39:40]
	v_add_f64 v[47:48], v[35:36], v[10:11]
	v_add_f64 v[53:54], v[35:36], -v[10:11]
	v_add_f64 v[69:70], v[10:11], -v[8:9]
	;; [unrolled: 1-line block ×4, first 2 shown]
	v_add_f64 v[79:80], v[17:18], v[21:22]
	v_add_f64 v[83:84], v[19:20], v[25:26]
	;; [unrolled: 1-line block ×6, first 2 shown]
	v_add_f64 v[33:34], v[33:34], -v[45:46]
	v_add_f64 v[91:92], v[6:7], v[15:16]
	v_add_f64 v[93:94], v[4:5], v[13:14]
	v_add_f64 v[77:78], v[45:46], -v[41:42]
	v_add_f64 v[89:90], v[37:38], -v[41:42]
	;; [unrolled: 1-line block ×4, first 2 shown]
	v_fma_f64 v[29:30], v[29:30], -0.5, v[0:1]
	v_fma_f64 v[0:1], v[31:32], -0.5, v[0:1]
	;; [unrolled: 1-line block ×3, first 2 shown]
	v_add_f64 v[101:102], v[17:18], -v[13:14]
	v_fma_f64 v[2:3], v[47:48], -0.5, v[2:3]
	v_add_f64 v[13:14], v[13:14], -v[23:24]
	v_add_f64 v[35:36], v[39:40], -v[35:36]
	;; [unrolled: 1-line block ×4, first 2 shown]
	v_fma_f64 v[79:80], v[79:80], -0.5, v[4:5]
	v_add_f64 v[105:106], v[21:22], -v[23:24]
	v_fma_f64 v[4:5], v[81:82], -0.5, v[4:5]
	v_fma_f64 v[81:82], v[83:84], -0.5, v[6:7]
	v_add_f64 v[43:44], v[19:20], -v[25:26]
	v_fma_f64 v[6:7], v[85:86], -0.5, v[6:7]
	v_add_f64 v[85:86], v[17:18], -v[21:22]
	v_add_f64 v[39:40], v[49:50], v[39:40]
	v_add_f64 v[37:38], v[51:52], v[37:38]
	v_add_f64 v[97:98], v[15:16], -v[19:20]
	v_add_f64 v[15:16], v[19:20], -v[15:16]
	v_add_f64 v[51:52], v[75:76], v[87:88]
	v_add_f64 v[69:70], v[65:66], v[69:70]
	;; [unrolled: 1-line block ×4, first 2 shown]
	v_fma_f64 v[65:66], v[53:54], s[8:9], v[29:30]
	v_fma_f64 v[75:76], v[33:34], s[14:15], v[31:32]
	v_add_f64 v[49:50], v[73:74], v[77:78]
	v_fma_f64 v[29:30], v[53:54], s[14:15], v[29:30]
	v_fma_f64 v[31:32], v[33:34], s[8:9], v[31:32]
	;; [unrolled: 1-line block ×6, first 2 shown]
	v_add_f64 v[47:48], v[27:28], -v[25:26]
	v_fma_f64 v[91:92], v[95:96], s[8:9], v[79:80]
	v_fma_f64 v[93:94], v[13:14], s[14:15], v[81:82]
	v_add_f64 v[83:84], v[25:26], -v[27:28]
	v_add_f64 v[35:36], v[35:36], v[71:72]
	v_add_f64 v[71:72], v[99:100], v[103:104]
	;; [unrolled: 1-line block ×3, first 2 shown]
	v_fma_f64 v[99:100], v[43:44], s[14:15], v[4:5]
	v_fma_f64 v[101:102], v[85:86], s[8:9], v[6:7]
	;; [unrolled: 1-line block ×6, first 2 shown]
	v_add_f64 v[8:9], v[39:40], v[8:9]
	v_add_f64 v[37:38], v[37:38], v[41:42]
	;; [unrolled: 1-line block ×4, first 2 shown]
	v_fma_f64 v[21:22], v[67:68], s[4:5], v[65:66]
	v_fma_f64 v[25:26], v[89:90], s[6:7], v[75:76]
	;; [unrolled: 1-line block ×8, first 2 shown]
	v_add_f64 v[47:48], v[97:98], v[47:48]
	v_fma_f64 v[53:54], v[43:44], s[4:5], v[91:92]
	v_fma_f64 v[66:67], v[85:86], s[6:7], v[93:94]
	v_add_f64 v[83:84], v[15:16], v[83:84]
	v_fma_f64 v[75:76], v[95:96], s[4:5], v[99:100]
	v_fma_f64 v[77:78], v[13:14], s[6:7], v[101:102]
	;; [unrolled: 1-line block ×6, first 2 shown]
	v_add_f64 v[15:16], v[8:9], v[10:11]
	v_add_f64 v[13:14], v[37:38], v[45:46]
	;; [unrolled: 1-line block ×4, first 2 shown]
	v_fma_f64 v[21:22], v[49:50], s[0:1], v[21:22]
	v_fma_f64 v[23:24], v[69:70], s[0:1], v[25:26]
	;; [unrolled: 1-line block ×8, first 2 shown]
	v_mov_b32_e32 v68, 0x320
	v_fma_f64 v[37:38], v[71:72], s[0:1], v[53:54]
	v_fma_f64 v[39:40], v[47:48], s[0:1], v[66:67]
	v_mov_b32_e32 v65, 4
	v_fma_f64 v[0:1], v[73:74], s[0:1], v[75:76]
	v_fma_f64 v[2:3], v[83:84], s[0:1], v[77:78]
	;; [unrolled: 1-line block ×6, first 2 shown]
	v_mul_u32_u24_sdwa v12, v12, v68 dst_sel:DWORD dst_unused:UNUSED_PAD src0_sel:WORD_0 src1_sel:DWORD
	v_lshlrev_b32_sdwa v42, v65, v107 dst_sel:DWORD dst_unused:UNUSED_PAD src0_sel:DWORD src1_sel:BYTE_0
	v_mul_u32_u24_e32 v41, 0x320, v55
	v_lshlrev_b32_sdwa v43, v65, v108 dst_sel:DWORD dst_unused:UNUSED_PAD src0_sel:DWORD src1_sel:WORD_0
	v_cmp_gt_u32_e64 s0, 0x4b, v60
	v_add3_u32 v12, 0, v12, v42
	v_add3_u32 v41, 0, v41, v43
	ds_write_b128 v12, v[13:16]
	ds_write_b128 v12, v[21:24] offset:160
	ds_write_b128 v12, v[29:32] offset:320
	;; [unrolled: 1-line block ×4, first 2 shown]
	ds_write_b128 v41, v[17:20]
	ds_write_b128 v41, v[37:40] offset:160
	ds_write_b128 v41, v[0:3] offset:320
	;; [unrolled: 1-line block ×4, first 2 shown]
	s_waitcnt lgkmcnt(0)
	s_barrier
	buffer_gl0_inv
	ds_read_b128 v[28:31], v63
	ds_read_b128 v[48:51], v63 offset:4000
	ds_read_b128 v[44:47], v63 offset:8000
	;; [unrolled: 1-line block ×6, first 2 shown]
                                        ; implicit-def: $vgpr26_vgpr27
                                        ; implicit-def: $vgpr22_vgpr23
                                        ; implicit-def: $vgpr18_vgpr19
                                        ; implicit-def: $vgpr14_vgpr15
	s_and_saveexec_b32 s1, s0
	s_cbranch_execz .LBB0_21
; %bb.20:
	ds_read_b128 v[0:3], v63 offset:2800
	ds_read_b128 v[4:7], v63 offset:6800
	;; [unrolled: 1-line block ×7, first 2 shown]
.LBB0_21:
	s_or_b32 exec_lo, exec_lo, s1
	v_mul_lo_u16 v62, v62, 41
	s_mov_b32 s8, 0x37e14327
	s_mov_b32 s16, 0xe976ee23
	;; [unrolled: 1-line block ×4, first 2 shown]
	v_lshrrev_b16 v62, 11, v62
	s_mov_b32 s6, 0x429ad128
	s_mov_b32 s4, 0x36b3c0b5
	;; [unrolled: 1-line block ×4, first 2 shown]
	v_mul_lo_u16 v66, v62, 50
	s_mov_b32 s14, 0xaaaaaaaa
	s_mov_b32 s22, 0xb247c609
	;; [unrolled: 1-line block ×4, first 2 shown]
	v_sub_nc_u16 v102, v60, v66
	s_mov_b32 s23, 0xbfd5d0dc
	s_mov_b32 s19, 0x3fe77f67
	;; [unrolled: 1-line block ×4, first 2 shown]
	v_mul_u32_u24_sdwa v64, v102, v64 dst_sel:DWORD dst_unused:UNUSED_PAD src0_sel:BYTE_0 src1_sel:DWORD
	s_mov_b32 s20, s18
	s_mov_b32 s24, s22
	;; [unrolled: 1-line block ×4, first 2 shown]
	v_lshlrev_b32_e32 v64, 4, v64
	s_clause 0x5
	global_load_dwordx4 v[66:69], v64, s[12:13] offset:768
	global_load_dwordx4 v[70:73], v64, s[12:13] offset:784
	global_load_dwordx4 v[74:77], v64, s[12:13] offset:848
	global_load_dwordx4 v[78:81], v64, s[12:13] offset:832
	global_load_dwordx4 v[82:85], v64, s[12:13] offset:800
	global_load_dwordx4 v[86:89], v64, s[12:13] offset:816
	s_waitcnt vmcnt(0) lgkmcnt(0)
	s_barrier
	buffer_gl0_inv
	v_mul_f64 v[90:91], v[50:51], v[68:69]
	v_mul_f64 v[68:69], v[48:49], v[68:69]
	;; [unrolled: 1-line block ×12, first 2 shown]
	v_fma_f64 v[48:49], v[48:49], v[66:67], v[90:91]
	v_fma_f64 v[50:51], v[50:51], v[66:67], -v[68:69]
	v_fma_f64 v[44:45], v[44:45], v[70:71], v[92:93]
	v_fma_f64 v[46:47], v[46:47], v[70:71], -v[72:73]
	;; [unrolled: 2-line block ×6, first 2 shown]
	v_add_f64 v[66:67], v[48:49], v[52:53]
	v_add_f64 v[68:69], v[50:51], v[54:55]
	;; [unrolled: 1-line block ×4, first 2 shown]
	v_add_f64 v[40:41], v[44:45], -v[40:41]
	v_add_f64 v[42:43], v[46:47], -v[42:43]
	v_add_f64 v[44:45], v[36:37], v[32:33]
	v_add_f64 v[46:47], v[38:39], v[34:35]
	v_add_f64 v[32:33], v[32:33], -v[36:37]
	v_add_f64 v[34:35], v[34:35], -v[38:39]
	;; [unrolled: 1-line block ×4, first 2 shown]
	v_add_f64 v[48:49], v[70:71], v[66:67]
	v_add_f64 v[50:51], v[72:73], v[68:69]
	v_add_f64 v[52:53], v[66:67], -v[44:45]
	v_add_f64 v[54:55], v[68:69], -v[46:47]
	;; [unrolled: 1-line block ×6, first 2 shown]
	v_add_f64 v[40:41], v[32:33], v[40:41]
	v_add_f64 v[42:43], v[34:35], v[42:43]
	v_add_f64 v[82:83], v[36:37], -v[32:33]
	v_add_f64 v[84:85], v[38:39], -v[34:35]
	v_add_f64 v[48:49], v[44:45], v[48:49]
	v_add_f64 v[50:51], v[46:47], v[50:51]
	v_add_f64 v[44:45], v[44:45], -v[70:71]
	v_add_f64 v[46:47], v[46:47], -v[72:73]
	v_mul_f64 v[52:53], v[52:53], s[8:9]
	v_mul_f64 v[54:55], v[54:55], s[8:9]
	;; [unrolled: 1-line block ×6, first 2 shown]
	v_add_f64 v[36:37], v[40:41], v[36:37]
	v_add_f64 v[38:39], v[42:43], v[38:39]
	;; [unrolled: 1-line block ×4, first 2 shown]
	v_add_f64 v[28:29], v[70:71], -v[66:67]
	v_add_f64 v[30:31], v[72:73], -v[68:69]
	v_mul_f64 v[66:67], v[44:45], s[4:5]
	v_mul_f64 v[68:69], v[46:47], s[4:5]
	v_fma_f64 v[40:41], v[44:45], s[4:5], v[52:53]
	v_fma_f64 v[42:43], v[46:47], s[4:5], v[54:55]
	;; [unrolled: 1-line block ×4, first 2 shown]
	v_fma_f64 v[70:71], v[78:79], s[6:7], -v[74:75]
	v_fma_f64 v[72:73], v[80:81], s[6:7], -v[76:77]
	;; [unrolled: 1-line block ×4, first 2 shown]
	v_fma_f64 v[48:49], v[48:49], s[14:15], v[32:33]
	v_fma_f64 v[50:51], v[50:51], s[14:15], v[34:35]
	v_fma_f64 v[52:53], v[28:29], s[20:21], -v[52:53]
	v_fma_f64 v[54:55], v[30:31], s[20:21], -v[54:55]
	;; [unrolled: 1-line block ×4, first 2 shown]
	v_fma_f64 v[68:69], v[36:37], s[26:27], v[44:45]
	v_fma_f64 v[66:67], v[38:39], s[26:27], v[46:47]
	;; [unrolled: 1-line block ×6, first 2 shown]
	v_add_f64 v[78:79], v[40:41], v[48:49]
	v_add_f64 v[80:81], v[42:43], v[50:51]
	;; [unrolled: 1-line block ×7, first 2 shown]
	v_add_f64 v[38:39], v[80:81], -v[68:69]
	v_add_f64 v[40:41], v[76:77], v[52:53]
	v_add_f64 v[42:43], v[54:55], -v[74:75]
	v_add_f64 v[44:45], v[28:29], -v[72:73]
	v_add_f64 v[46:47], v[70:71], v[30:31]
	v_add_f64 v[48:49], v[72:73], v[28:29]
	v_add_f64 v[50:51], v[30:31], -v[70:71]
	v_add_f64 v[52:53], v[52:53], -v[76:77]
	v_add_f64 v[54:55], v[74:75], v[54:55]
	v_add_f64 v[66:67], v[78:79], -v[66:67]
	v_add_f64 v[68:69], v[68:69], v[80:81]
	v_mov_b32_e32 v28, 0x15e0
	v_lshlrev_b32_sdwa v30, v65, v102 dst_sel:DWORD dst_unused:UNUSED_PAD src0_sel:DWORD src1_sel:BYTE_0
	v_mul_u32_u24_sdwa v29, v62, v28 dst_sel:DWORD dst_unused:UNUSED_PAD src0_sel:WORD_0 src1_sel:DWORD
	v_add3_u32 v29, 0, v29, v30
	ds_write_b128 v29, v[32:35]
	ds_write_b128 v29, v[36:39] offset:800
	ds_write_b128 v29, v[40:43] offset:1600
	ds_write_b128 v29, v[44:47] offset:2400
	ds_write_b128 v29, v[48:51] offset:3200
	ds_write_b128 v29, v[52:55] offset:4000
	ds_write_b128 v29, v[66:69] offset:4800
	s_and_saveexec_b32 s1, s0
	s_cbranch_execz .LBB0_23
; %bb.22:
	v_lshrrev_b16 v29, 1, v61
	v_mov_b32_e32 v30, 0x147b
	v_mul_u32_u24_sdwa v29, v29, v30 dst_sel:DWORD dst_unused:UNUSED_PAD src0_sel:WORD_0 src1_sel:DWORD
	v_mov_b32_e32 v30, 6
	v_lshrrev_b32_e32 v29, 17, v29
	v_mul_lo_u16 v29, v29, 50
	v_sub_nc_u16 v55, v61, v29
	v_mul_u32_u24_sdwa v29, v55, v30 dst_sel:DWORD dst_unused:UNUSED_PAD src0_sel:WORD_0 src1_sel:DWORD
	v_lshlrev_b32_e32 v49, 4, v29
	s_clause 0x5
	global_load_dwordx4 v[29:32], v49, s[12:13] offset:784
	global_load_dwordx4 v[33:36], v49, s[12:13] offset:832
	;; [unrolled: 1-line block ×6, first 2 shown]
	s_waitcnt vmcnt(5)
	v_mul_f64 v[53:54], v[8:9], v[31:32]
	s_waitcnt vmcnt(4)
	v_mul_f64 v[64:65], v[20:21], v[35:36]
	;; [unrolled: 2-line block ×4, first 2 shown]
	v_mul_f64 v[31:32], v[10:11], v[31:32]
	v_mul_f64 v[35:36], v[22:23], v[35:36]
	v_mul_f64 v[39:40], v[6:7], v[39:40]
	v_mul_f64 v[43:44], v[26:27], v[43:44]
	s_waitcnt vmcnt(1)
	v_mul_f64 v[70:71], v[18:19], v[47:48]
	s_waitcnt vmcnt(0)
	v_mul_f64 v[72:73], v[14:15], v[51:52]
	v_mul_f64 v[51:52], v[12:13], v[51:52]
	;; [unrolled: 1-line block ×3, first 2 shown]
	v_fma_f64 v[10:11], v[10:11], v[29:30], -v[53:54]
	v_fma_f64 v[22:23], v[22:23], v[33:34], -v[64:65]
	;; [unrolled: 1-line block ×4, first 2 shown]
	v_fma_f64 v[8:9], v[8:9], v[29:30], v[31:32]
	v_fma_f64 v[20:21], v[20:21], v[33:34], v[35:36]
	;; [unrolled: 1-line block ×6, first 2 shown]
	v_fma_f64 v[14:15], v[14:15], v[49:50], -v[51:52]
	v_fma_f64 v[18:19], v[18:19], v[45:46], -v[47:48]
	v_add_f64 v[29:30], v[10:11], v[22:23]
	v_add_f64 v[10:11], v[10:11], -v[22:23]
	v_add_f64 v[31:32], v[6:7], v[26:27]
	v_add_f64 v[6:7], v[6:7], -v[26:27]
	;; [unrolled: 2-line block ×4, first 2 shown]
	v_add_f64 v[37:38], v[16:17], -v[12:13]
	v_add_f64 v[12:13], v[12:13], v[16:17]
	v_add_f64 v[20:21], v[14:15], v[18:19]
	v_add_f64 v[14:15], v[18:19], -v[14:15]
	v_add_f64 v[16:17], v[29:30], v[31:32]
	v_add_f64 v[43:44], v[10:11], -v[6:7]
	;; [unrolled: 2-line block ×3, first 2 shown]
	v_add_f64 v[22:23], v[37:38], -v[8:9]
	v_add_f64 v[26:27], v[35:36], -v[12:13]
	;; [unrolled: 1-line block ×4, first 2 shown]
	v_add_f64 v[8:9], v[37:38], v[8:9]
	v_add_f64 v[37:38], v[4:5], -v[37:38]
	v_add_f64 v[10:11], v[14:15], v[10:11]
	v_add_f64 v[14:15], v[6:7], -v[14:15]
	;; [unrolled: 2-line block ×3, first 2 shown]
	v_add_f64 v[29:30], v[29:30], -v[31:32]
	v_mul_f64 v[47:48], v[43:44], s[6:7]
	v_add_f64 v[18:19], v[12:13], v[18:19]
	v_add_f64 v[12:13], v[12:13], -v[33:34]
	v_mul_f64 v[22:23], v[22:23], s[16:17]
	v_mul_f64 v[26:27], v[26:27], s[8:9]
	;; [unrolled: 1-line block ×5, first 2 shown]
	v_add_f64 v[33:34], v[33:34], -v[35:36]
	v_add_f64 v[4:5], v[8:9], v[4:5]
	v_add_f64 v[6:7], v[10:11], v[6:7]
	;; [unrolled: 1-line block ×3, first 2 shown]
	v_mul_f64 v[31:32], v[20:21], s[4:5]
	v_add_f64 v[0:1], v[0:1], v[18:19]
	v_mul_f64 v[35:36], v[12:13], s[4:5]
	v_fma_f64 v[8:9], v[37:38], s[22:23], v[22:23]
	v_fma_f64 v[12:13], v[12:13], s[4:5], v[26:27]
	;; [unrolled: 1-line block ×3, first 2 shown]
	v_fma_f64 v[20:21], v[37:38], s[24:25], -v[45:46]
	v_fma_f64 v[22:23], v[39:40], s[6:7], -v[22:23]
	;; [unrolled: 1-line block ×5, first 2 shown]
	v_fma_f64 v[16:17], v[16:17], s[14:15], v[2:3]
	v_fma_f64 v[29:30], v[29:30], s[18:19], -v[31:32]
	v_fma_f64 v[31:32], v[14:15], s[22:23], v[41:42]
	v_fma_f64 v[14:15], v[14:15], s[24:25], -v[47:48]
	v_fma_f64 v[18:19], v[18:19], s[14:15], v[0:1]
	v_fma_f64 v[33:34], v[33:34], s[18:19], -v[35:36]
	v_fma_f64 v[8:9], v[4:5], s[26:27], v[8:9]
	v_fma_f64 v[20:21], v[4:5], s[26:27], v[20:21]
	v_fma_f64 v[4:5], v[4:5], s[26:27], v[22:23]
	v_fma_f64 v[37:38], v[6:7], s[26:27], v[37:38]
	v_add_f64 v[35:36], v[10:11], v[16:17]
	v_add_f64 v[22:23], v[24:25], v[16:17]
	;; [unrolled: 1-line block ×3, first 2 shown]
	v_fma_f64 v[29:30], v[6:7], s[26:27], v[31:32]
	v_add_f64 v[39:40], v[12:13], v[18:19]
	v_fma_f64 v[31:32], v[6:7], s[26:27], v[14:15]
	v_add_f64 v[41:42], v[26:27], v[18:19]
	v_add_f64 v[12:13], v[33:34], v[18:19]
	v_and_b32_e32 v6, 0xff, v61
	v_mul_lo_u16 v6, v6, 41
	v_lshrrev_b16 v33, 11, v6
	v_add_f64 v[26:27], v[35:36], -v[8:9]
	v_add_f64 v[10:11], v[20:21], v[22:23]
	v_add_f64 v[22:23], v[22:23], -v[20:21]
	v_add_f64 v[14:15], v[16:17], -v[4:5]
	v_add_f64 v[24:25], v[29:30], v[39:40]
	v_add_f64 v[18:19], v[4:5], v[16:17]
	;; [unrolled: 1-line block ×3, first 2 shown]
	v_add_f64 v[16:17], v[12:13], -v[37:38]
	v_add_f64 v[12:13], v[37:38], v[12:13]
	v_add_f64 v[6:7], v[8:9], v[35:36]
	v_add_f64 v[8:9], v[41:42], -v[31:32]
	v_add_f64 v[4:5], v[39:40], -v[29:30]
	v_mov_b32_e32 v29, 4
	v_mul_u32_u24_sdwa v28, v33, v28 dst_sel:DWORD dst_unused:UNUSED_PAD src0_sel:WORD_0 src1_sel:DWORD
	v_lshlrev_b32_sdwa v29, v29, v55 dst_sel:DWORD dst_unused:UNUSED_PAD src0_sel:DWORD src1_sel:WORD_0
	v_add3_u32 v28, 0, v28, v29
	ds_write_b128 v28, v[0:3]
	ds_write_b128 v28, v[24:27] offset:800
	ds_write_b128 v28, v[20:23] offset:1600
	;; [unrolled: 1-line block ×6, first 2 shown]
.LBB0_23:
	s_or_b32 exec_lo, exec_lo, s1
	v_lshlrev_b32_e32 v0, 2, v60
	v_mov_b32_e32 v1, 0
	s_waitcnt lgkmcnt(0)
	s_barrier
	buffer_gl0_inv
	s_mov_b32 s4, 0x134454ff
	v_lshlrev_b64 v[2:3], 4, v[0:1]
	v_lshlrev_b32_e32 v0, 2, v61
	s_mov_b32 s5, 0xbfee6f0e
	s_mov_b32 s9, 0x3fee6f0e
	;; [unrolled: 1-line block ×4, first 2 shown]
	v_add_co_u32 v4, s0, s12, v2
	v_add_co_ci_u32_e64 v5, s0, s13, v3, s0
	v_lshlrev_b64 v[16:17], 4, v[0:1]
	v_add_co_u32 v2, s0, 0x1000, v4
	v_add_co_ci_u32_e64 v3, s0, 0, v5, s0
	v_add_co_u32 v14, s0, 0x15c0, v4
	v_add_co_ci_u32_e64 v15, s0, 0, v5, s0
	v_add_co_u32 v0, s0, s12, v16
	v_add_co_ci_u32_e64 v20, s0, s13, v17, s0
	s_clause 0x2
	global_load_dwordx4 v[2:5], v[2:3], off offset:1472
	global_load_dwordx4 v[6:9], v[14:15], off offset:32
	;; [unrolled: 1-line block ×3, first 2 shown]
	v_add_co_u32 v18, s0, 0x1000, v0
	v_add_co_ci_u32_e64 v19, s0, 0, v20, s0
	v_add_co_u32 v30, s0, 0x15c0, v0
	global_load_dwordx4 v[14:17], v[14:15], off offset:48
	v_add_co_ci_u32_e64 v31, s0, 0, v20, s0
	s_clause 0x3
	global_load_dwordx4 v[18:21], v[18:19], off offset:1472
	global_load_dwordx4 v[22:25], v[30:31], off offset:16
	;; [unrolled: 1-line block ×4, first 2 shown]
	ds_read_b128 v[34:37], v63 offset:5600
	ds_read_b128 v[38:41], v63 offset:11200
	;; [unrolled: 1-line block ×8, first 2 shown]
	s_mov_b32 s0, 0x4755a5e
	s_mov_b32 s1, 0xbfe2cf23
	;; [unrolled: 1-line block ×3, first 2 shown]
	s_waitcnt vmcnt(7) lgkmcnt(7)
	v_mul_f64 v[54:55], v[36:37], v[4:5]
	s_waitcnt vmcnt(6) lgkmcnt(5)
	v_mul_f64 v[76:77], v[44:45], v[8:9]
	s_waitcnt vmcnt(5)
	v_mul_f64 v[61:62], v[40:41], v[12:13]
	v_mul_f64 v[12:13], v[38:39], v[12:13]
	;; [unrolled: 1-line block ×4, first 2 shown]
	s_waitcnt vmcnt(4) lgkmcnt(4)
	v_mul_f64 v[78:79], v[46:47], v[16:17]
	v_mul_f64 v[16:17], v[48:49], v[16:17]
	s_waitcnt vmcnt(3) lgkmcnt(3)
	v_mul_f64 v[80:81], v[52:53], v[20:21]
	v_mul_f64 v[20:21], v[50:51], v[20:21]
	;; [unrolled: 3-line block ×5, first 2 shown]
	v_fma_f64 v[34:35], v[34:35], v[2:3], v[54:55]
	v_fma_f64 v[38:39], v[38:39], v[10:11], v[61:62]
	v_fma_f64 v[10:11], v[40:41], v[10:11], -v[12:13]
	v_fma_f64 v[12:13], v[42:43], v[6:7], v[76:77]
	v_fma_f64 v[42:43], v[44:45], v[6:7], -v[8:9]
	v_fma_f64 v[36:37], v[36:37], v[2:3], -v[4:5]
	ds_read_b128 v[2:5], v63
	ds_read_b128 v[6:9], v63 offset:2800
	v_fma_f64 v[40:41], v[48:49], v[14:15], -v[78:79]
	v_fma_f64 v[14:15], v[46:47], v[14:15], v[16:17]
	v_fma_f64 v[16:17], v[50:51], v[18:19], v[80:81]
	v_fma_f64 v[18:19], v[52:53], v[18:19], -v[20:21]
	v_fma_f64 v[20:21], v[64:65], v[22:23], v[82:83]
	v_fma_f64 v[22:23], v[66:67], v[22:23], -v[24:25]
	;; [unrolled: 2-line block ×4, first 2 shown]
	s_waitcnt lgkmcnt(0)
	s_barrier
	buffer_gl0_inv
	v_add_f64 v[50:51], v[34:35], -v[38:39]
	v_add_f64 v[61:62], v[38:39], -v[34:35]
	v_add_f64 v[44:45], v[38:39], v[12:13]
	v_add_f64 v[68:69], v[10:11], v[42:43]
	;; [unrolled: 1-line block ×4, first 2 shown]
	v_add_f64 v[72:73], v[36:37], -v[10:11]
	v_add_f64 v[76:77], v[36:37], v[40:41]
	v_add_f64 v[54:55], v[34:35], v[14:15]
	v_add_f64 v[52:53], v[14:15], -v[12:13]
	v_add_f64 v[82:83], v[6:7], v[16:17]
	v_add_f64 v[102:103], v[8:9], v[18:19]
	;; [unrolled: 3-line block ×3, first 2 shown]
	v_add_f64 v[84:85], v[16:17], v[28:29]
	v_add_f64 v[90:91], v[18:19], v[30:31]
	v_add_f64 v[64:65], v[12:13], -v[14:15]
	v_add_f64 v[34:35], v[34:35], -v[14:15]
	v_add_f64 v[74:75], v[40:41], -v[42:43]
	v_add_f64 v[36:37], v[10:11], -v[36:37]
	v_add_f64 v[78:79], v[42:43], -v[40:41]
	v_add_f64 v[48:49], v[10:11], -v[42:43]
	v_add_f64 v[70:71], v[38:39], -v[12:13]
	v_fma_f64 v[44:45], v[44:45], -0.5, v[2:3]
	v_fma_f64 v[68:69], v[68:69], -0.5, v[4:5]
	v_add_f64 v[86:87], v[18:19], -v[30:31]
	v_add_f64 v[94:95], v[16:17], -v[20:21]
	;; [unrolled: 1-line block ×3, first 2 shown]
	v_fma_f64 v[4:5], v[76:77], -0.5, v[4:5]
	v_fma_f64 v[2:3], v[54:55], -0.5, v[2:3]
	v_add_f64 v[16:17], v[16:17], -v[28:29]
	v_add_f64 v[32:33], v[32:33], v[38:39]
	v_add_f64 v[38:39], v[50:51], v[52:53]
	v_add_f64 v[92:93], v[22:23], -v[26:27]
	v_fma_f64 v[80:81], v[80:81], -0.5, v[6:7]
	v_fma_f64 v[50:51], v[88:89], -0.5, v[8:9]
	v_add_f64 v[96:97], v[28:29], -v[24:25]
	v_add_f64 v[104:105], v[20:21], -v[24:25]
	v_fma_f64 v[6:7], v[84:85], -0.5, v[6:7]
	v_fma_f64 v[8:9], v[90:91], -0.5, v[8:9]
	v_add_f64 v[10:11], v[66:67], v[10:11]
	v_add_f64 v[106:107], v[18:19], -v[22:23]
	v_add_f64 v[18:19], v[22:23], -v[18:19]
	;; [unrolled: 1-line block ×3, first 2 shown]
	v_add_f64 v[20:21], v[82:83], v[20:21]
	v_add_f64 v[22:23], v[102:103], v[22:23]
	;; [unrolled: 1-line block ×5, first 2 shown]
	v_fma_f64 v[72:73], v[46:47], s[4:5], v[44:45]
	v_fma_f64 v[78:79], v[34:35], s[8:9], v[68:69]
	;; [unrolled: 1-line block ×8, first 2 shown]
	v_add_f64 v[54:55], v[30:31], -v[26:27]
	v_fma_f64 v[84:85], v[86:87], s[4:5], v[80:81]
	v_fma_f64 v[90:91], v[16:17], s[8:9], v[50:51]
	v_add_f64 v[100:101], v[24:25], -v[28:29]
	v_add_f64 v[64:65], v[94:95], v[96:97]
	v_fma_f64 v[88:89], v[92:93], s[8:9], v[6:7]
	v_fma_f64 v[94:95], v[104:105], s[4:5], v[8:9]
	;; [unrolled: 1-line block ×6, first 2 shown]
	v_add_f64 v[12:13], v[32:33], v[12:13]
	v_add_f64 v[10:11], v[10:11], v[42:43]
	;; [unrolled: 1-line block ×5, first 2 shown]
	v_fma_f64 v[22:23], v[48:49], s[0:1], v[72:73]
	v_fma_f64 v[42:43], v[70:71], s[6:7], v[78:79]
	;; [unrolled: 1-line block ×8, first 2 shown]
	v_add_f64 v[54:55], v[106:107], v[54:55]
	v_fma_f64 v[48:49], v[92:93], s[0:1], v[84:85]
	v_fma_f64 v[74:75], v[104:105], s[6:7], v[90:91]
	v_add_f64 v[66:67], v[98:99], v[100:101]
	v_fma_f64 v[70:71], v[86:87], s[0:1], v[88:89]
	v_fma_f64 v[78:79], v[16:17], s[6:7], v[94:95]
	;; [unrolled: 1-line block ×6, first 2 shown]
	s_mov_b32 s0, 0x372fe950
	s_mov_b32 s1, 0x3fd3c6ef
	v_add_f64 v[2:3], v[12:13], v[14:15]
	v_add_f64 v[4:5], v[10:11], v[40:41]
	;; [unrolled: 1-line block ×4, first 2 shown]
	v_fma_f64 v[10:11], v[38:39], s[0:1], v[22:23]
	v_fma_f64 v[12:13], v[61:62], s[0:1], v[42:43]
	;; [unrolled: 1-line block ×16, first 2 shown]
	ds_write_b128 v63, v[2:5]
	ds_write_b128 v63, v[6:9] offset:2800
	ds_write_b128 v63, v[10:13] offset:5600
	;; [unrolled: 1-line block ×9, first 2 shown]
	s_waitcnt lgkmcnt(0)
	s_barrier
	buffer_gl0_inv
	s_and_saveexec_b32 s0, vcc_lo
	s_cbranch_execz .LBB0_25
; %bb.24:
	v_mul_lo_u32 v0, s3, v58
	v_mul_lo_u32 v4, s2, v59
	v_mad_u64_u32 v[2:3], null, s2, v58, 0
	v_lshl_add_u32 v28, v60, 4, 0
	v_mov_b32_e32 v61, v1
	v_lshlrev_b64 v[10:11], 4, v[56:57]
	v_lshlrev_b64 v[14:15], 4, v[60:61]
	v_add3_u32 v3, v3, v4, v0
	v_add_nc_u32_e32 v0, 0xaf, v60
	v_lshlrev_b64 v[12:13], 4, v[2:3]
	ds_read_b128 v[2:5], v28
	ds_read_b128 v[6:9], v28 offset:2800
	v_add_co_u32 v16, vcc_lo, s10, v12
	v_add_co_ci_u32_e32 v17, vcc_lo, s11, v13, vcc_lo
	v_lshlrev_b64 v[12:13], 4, v[0:1]
	v_add_co_u32 v30, vcc_lo, v16, v10
	v_add_co_ci_u32_e32 v31, vcc_lo, v17, v11, vcc_lo
	v_add_nc_u32_e32 v0, 0x15e, v60
	v_add_co_u32 v10, vcc_lo, v30, v14
	v_add_co_ci_u32_e32 v11, vcc_lo, v31, v15, vcc_lo
	v_add_co_u32 v12, vcc_lo, v30, v12
	v_add_co_ci_u32_e32 v13, vcc_lo, v31, v13, vcc_lo
	s_waitcnt lgkmcnt(1)
	global_store_dwordx4 v[10:11], v[2:5], off
	s_waitcnt lgkmcnt(0)
	global_store_dwordx4 v[12:13], v[6:9], off
	v_lshlrev_b64 v[14:15], 4, v[0:1]
	v_add_nc_u32_e32 v0, 0x20d, v60
	ds_read_b128 v[2:5], v28 offset:5600
	ds_read_b128 v[6:9], v28 offset:8400
	;; [unrolled: 1-line block ×3, first 2 shown]
	v_lshlrev_b64 v[16:17], 4, v[0:1]
	v_add_nc_u32_e32 v0, 0x2bc, v60
	v_add_co_u32 v14, vcc_lo, v30, v14
	v_add_co_ci_u32_e32 v15, vcc_lo, v31, v15, vcc_lo
	v_lshlrev_b64 v[18:19], 4, v[0:1]
	v_add_nc_u32_e32 v0, 0x36b, v60
	v_add_co_u32 v16, vcc_lo, v30, v16
	v_add_co_ci_u32_e32 v17, vcc_lo, v31, v17, vcc_lo
	v_lshlrev_b64 v[20:21], 4, v[0:1]
	v_add_nc_u32_e32 v0, 0x41a, v60
	v_add_co_u32 v18, vcc_lo, v30, v18
	s_waitcnt lgkmcnt(2)
	global_store_dwordx4 v[14:15], v[2:5], off
	s_waitcnt lgkmcnt(1)
	global_store_dwordx4 v[16:17], v[6:9], off
	v_add_co_ci_u32_e32 v19, vcc_lo, v31, v19, vcc_lo
	v_lshlrev_b64 v[6:7], 4, v[0:1]
	v_add_co_u32 v22, vcc_lo, v30, v20
	v_add_nc_u32_e32 v0, 0x4c9, v60
	v_add_co_ci_u32_e32 v23, vcc_lo, v31, v21, vcc_lo
	v_add_co_u32 v24, vcc_lo, v30, v6
	s_waitcnt lgkmcnt(0)
	global_store_dwordx4 v[18:19], v[10:13], off
	ds_read_b128 v[2:5], v28 offset:14000
	v_add_co_ci_u32_e32 v25, vcc_lo, v31, v7, vcc_lo
	ds_read_b128 v[6:9], v28 offset:16800
	ds_read_b128 v[10:13], v28 offset:19600
	;; [unrolled: 1-line block ×4, first 2 shown]
	v_lshlrev_b64 v[26:27], 4, v[0:1]
	v_add_nc_u32_e32 v0, 0x578, v60
	v_lshlrev_b64 v[28:29], 4, v[0:1]
	v_add_nc_u32_e32 v0, 0x627, v60
	v_add_co_u32 v26, vcc_lo, v30, v26
	v_add_co_ci_u32_e32 v27, vcc_lo, v31, v27, vcc_lo
	v_lshlrev_b64 v[0:1], 4, v[0:1]
	v_add_co_u32 v28, vcc_lo, v30, v28
	v_add_co_ci_u32_e32 v29, vcc_lo, v31, v29, vcc_lo
	v_add_co_u32 v0, vcc_lo, v30, v0
	v_add_co_ci_u32_e32 v1, vcc_lo, v31, v1, vcc_lo
	s_waitcnt lgkmcnt(4)
	global_store_dwordx4 v[22:23], v[2:5], off
	s_waitcnt lgkmcnt(3)
	global_store_dwordx4 v[24:25], v[6:9], off
	;; [unrolled: 2-line block ×5, first 2 shown]
.LBB0_25:
	s_endpgm
	.section	.rodata,"a",@progbits
	.p2align	6, 0x0
	.amdhsa_kernel fft_rtc_back_len1750_factors_2_5_5_7_5_wgs_175_tpt_175_halfLds_dp_op_CI_CI_unitstride_sbrr_C2R_dirReg
		.amdhsa_group_segment_fixed_size 0
		.amdhsa_private_segment_fixed_size 0
		.amdhsa_kernarg_size 104
		.amdhsa_user_sgpr_count 6
		.amdhsa_user_sgpr_private_segment_buffer 1
		.amdhsa_user_sgpr_dispatch_ptr 0
		.amdhsa_user_sgpr_queue_ptr 0
		.amdhsa_user_sgpr_kernarg_segment_ptr 1
		.amdhsa_user_sgpr_dispatch_id 0
		.amdhsa_user_sgpr_flat_scratch_init 0
		.amdhsa_user_sgpr_private_segment_size 0
		.amdhsa_wavefront_size32 1
		.amdhsa_uses_dynamic_stack 0
		.amdhsa_system_sgpr_private_segment_wavefront_offset 0
		.amdhsa_system_sgpr_workgroup_id_x 1
		.amdhsa_system_sgpr_workgroup_id_y 0
		.amdhsa_system_sgpr_workgroup_id_z 0
		.amdhsa_system_sgpr_workgroup_info 0
		.amdhsa_system_vgpr_workitem_id 0
		.amdhsa_next_free_vgpr 110
		.amdhsa_next_free_sgpr 28
		.amdhsa_reserve_vcc 1
		.amdhsa_reserve_flat_scratch 0
		.amdhsa_float_round_mode_32 0
		.amdhsa_float_round_mode_16_64 0
		.amdhsa_float_denorm_mode_32 3
		.amdhsa_float_denorm_mode_16_64 3
		.amdhsa_dx10_clamp 1
		.amdhsa_ieee_mode 1
		.amdhsa_fp16_overflow 0
		.amdhsa_workgroup_processor_mode 1
		.amdhsa_memory_ordered 1
		.amdhsa_forward_progress 0
		.amdhsa_shared_vgpr_count 0
		.amdhsa_exception_fp_ieee_invalid_op 0
		.amdhsa_exception_fp_denorm_src 0
		.amdhsa_exception_fp_ieee_div_zero 0
		.amdhsa_exception_fp_ieee_overflow 0
		.amdhsa_exception_fp_ieee_underflow 0
		.amdhsa_exception_fp_ieee_inexact 0
		.amdhsa_exception_int_div_zero 0
	.end_amdhsa_kernel
	.text
.Lfunc_end0:
	.size	fft_rtc_back_len1750_factors_2_5_5_7_5_wgs_175_tpt_175_halfLds_dp_op_CI_CI_unitstride_sbrr_C2R_dirReg, .Lfunc_end0-fft_rtc_back_len1750_factors_2_5_5_7_5_wgs_175_tpt_175_halfLds_dp_op_CI_CI_unitstride_sbrr_C2R_dirReg
                                        ; -- End function
	.section	.AMDGPU.csdata,"",@progbits
; Kernel info:
; codeLenInByte = 11076
; NumSgprs: 30
; NumVgprs: 110
; ScratchSize: 0
; MemoryBound: 0
; FloatMode: 240
; IeeeMode: 1
; LDSByteSize: 0 bytes/workgroup (compile time only)
; SGPRBlocks: 3
; VGPRBlocks: 13
; NumSGPRsForWavesPerEU: 30
; NumVGPRsForWavesPerEU: 110
; Occupancy: 9
; WaveLimiterHint : 1
; COMPUTE_PGM_RSRC2:SCRATCH_EN: 0
; COMPUTE_PGM_RSRC2:USER_SGPR: 6
; COMPUTE_PGM_RSRC2:TRAP_HANDLER: 0
; COMPUTE_PGM_RSRC2:TGID_X_EN: 1
; COMPUTE_PGM_RSRC2:TGID_Y_EN: 0
; COMPUTE_PGM_RSRC2:TGID_Z_EN: 0
; COMPUTE_PGM_RSRC2:TIDIG_COMP_CNT: 0
	.text
	.p2alignl 6, 3214868480
	.fill 48, 4, 3214868480
	.type	__hip_cuid_6c9a6e849931117e,@object ; @__hip_cuid_6c9a6e849931117e
	.section	.bss,"aw",@nobits
	.globl	__hip_cuid_6c9a6e849931117e
__hip_cuid_6c9a6e849931117e:
	.byte	0                               ; 0x0
	.size	__hip_cuid_6c9a6e849931117e, 1

	.ident	"AMD clang version 19.0.0git (https://github.com/RadeonOpenCompute/llvm-project roc-6.4.0 25133 c7fe45cf4b819c5991fe208aaa96edf142730f1d)"
	.section	".note.GNU-stack","",@progbits
	.addrsig
	.addrsig_sym __hip_cuid_6c9a6e849931117e
	.amdgpu_metadata
---
amdhsa.kernels:
  - .args:
      - .actual_access:  read_only
        .address_space:  global
        .offset:         0
        .size:           8
        .value_kind:     global_buffer
      - .offset:         8
        .size:           8
        .value_kind:     by_value
      - .actual_access:  read_only
        .address_space:  global
        .offset:         16
        .size:           8
        .value_kind:     global_buffer
      - .actual_access:  read_only
        .address_space:  global
        .offset:         24
        .size:           8
        .value_kind:     global_buffer
      - .actual_access:  read_only
        .address_space:  global
        .offset:         32
        .size:           8
        .value_kind:     global_buffer
      - .offset:         40
        .size:           8
        .value_kind:     by_value
      - .actual_access:  read_only
        .address_space:  global
        .offset:         48
        .size:           8
        .value_kind:     global_buffer
      - .actual_access:  read_only
        .address_space:  global
        .offset:         56
        .size:           8
        .value_kind:     global_buffer
      - .offset:         64
        .size:           4
        .value_kind:     by_value
      - .actual_access:  read_only
        .address_space:  global
        .offset:         72
        .size:           8
        .value_kind:     global_buffer
      - .actual_access:  read_only
        .address_space:  global
        .offset:         80
        .size:           8
        .value_kind:     global_buffer
      - .actual_access:  read_only
        .address_space:  global
        .offset:         88
        .size:           8
        .value_kind:     global_buffer
      - .actual_access:  write_only
        .address_space:  global
        .offset:         96
        .size:           8
        .value_kind:     global_buffer
    .group_segment_fixed_size: 0
    .kernarg_segment_align: 8
    .kernarg_segment_size: 104
    .language:       OpenCL C
    .language_version:
      - 2
      - 0
    .max_flat_workgroup_size: 175
    .name:           fft_rtc_back_len1750_factors_2_5_5_7_5_wgs_175_tpt_175_halfLds_dp_op_CI_CI_unitstride_sbrr_C2R_dirReg
    .private_segment_fixed_size: 0
    .sgpr_count:     30
    .sgpr_spill_count: 0
    .symbol:         fft_rtc_back_len1750_factors_2_5_5_7_5_wgs_175_tpt_175_halfLds_dp_op_CI_CI_unitstride_sbrr_C2R_dirReg.kd
    .uniform_work_group_size: 1
    .uses_dynamic_stack: false
    .vgpr_count:     110
    .vgpr_spill_count: 0
    .wavefront_size: 32
    .workgroup_processor_mode: 1
amdhsa.target:   amdgcn-amd-amdhsa--gfx1030
amdhsa.version:
  - 1
  - 2
...

	.end_amdgpu_metadata
